;; amdgpu-corpus repo=ROCm/rocFFT kind=compiled arch=gfx1100 opt=O3
	.text
	.amdgcn_target "amdgcn-amd-amdhsa--gfx1100"
	.amdhsa_code_object_version 6
	.protected	fft_rtc_back_len900_factors_10_10_3_3_wgs_180_tpt_90_halfLds_sp_ip_CI_unitstride_sbrr_R2C_dirReg ; -- Begin function fft_rtc_back_len900_factors_10_10_3_3_wgs_180_tpt_90_halfLds_sp_ip_CI_unitstride_sbrr_R2C_dirReg
	.globl	fft_rtc_back_len900_factors_10_10_3_3_wgs_180_tpt_90_halfLds_sp_ip_CI_unitstride_sbrr_R2C_dirReg
	.p2align	8
	.type	fft_rtc_back_len900_factors_10_10_3_3_wgs_180_tpt_90_halfLds_sp_ip_CI_unitstride_sbrr_R2C_dirReg,@function
fft_rtc_back_len900_factors_10_10_3_3_wgs_180_tpt_90_halfLds_sp_ip_CI_unitstride_sbrr_R2C_dirReg: ; @fft_rtc_back_len900_factors_10_10_3_3_wgs_180_tpt_90_halfLds_sp_ip_CI_unitstride_sbrr_R2C_dirReg
; %bb.0:
	s_clause 0x2
	s_load_b128 s[4:7], s[0:1], 0x0
	s_load_b64 s[8:9], s[0:1], 0x50
	s_load_b64 s[10:11], s[0:1], 0x18
	v_mul_u32_u24_e32 v1, 0x2d9, v0
	v_mov_b32_e32 v3, 0
	v_mov_b32_e32 v4, 0
	s_delay_alu instid0(VALU_DEP_3) | instskip(SKIP_1) | instid1(VALU_DEP_2)
	v_lshrrev_b32_e32 v9, 16, v1
	v_mov_b32_e32 v1, 0
	v_lshl_add_u32 v5, s15, 1, v9
	s_delay_alu instid0(VALU_DEP_2) | instskip(SKIP_2) | instid1(VALU_DEP_1)
	v_mov_b32_e32 v6, v1
	s_waitcnt lgkmcnt(0)
	v_cmp_lt_u64_e64 s2, s[6:7], 2
	s_and_b32 vcc_lo, exec_lo, s2
	s_cbranch_vccnz .LBB0_8
; %bb.1:
	s_load_b64 s[2:3], s[0:1], 0x10
	v_mov_b32_e32 v3, 0
	s_add_u32 s12, s10, 8
	v_mov_b32_e32 v4, 0
	s_addc_u32 s13, s11, 0
	s_mov_b64 s[16:17], 1
	s_waitcnt lgkmcnt(0)
	s_add_u32 s14, s2, 8
	s_addc_u32 s15, s3, 0
.LBB0_2:                                ; =>This Inner Loop Header: Depth=1
	s_load_b64 s[18:19], s[14:15], 0x0
                                        ; implicit-def: $vgpr7_vgpr8
	s_mov_b32 s2, exec_lo
	s_waitcnt lgkmcnt(0)
	v_or_b32_e32 v2, s19, v6
	s_delay_alu instid0(VALU_DEP_1)
	v_cmpx_ne_u64_e32 0, v[1:2]
	s_xor_b32 s3, exec_lo, s2
	s_cbranch_execz .LBB0_4
; %bb.3:                                ;   in Loop: Header=BB0_2 Depth=1
	v_cvt_f32_u32_e32 v2, s18
	v_cvt_f32_u32_e32 v7, s19
	s_sub_u32 s2, 0, s18
	s_subb_u32 s20, 0, s19
	s_delay_alu instid0(VALU_DEP_1) | instskip(NEXT) | instid1(VALU_DEP_1)
	v_fmac_f32_e32 v2, 0x4f800000, v7
	v_rcp_f32_e32 v2, v2
	s_waitcnt_depctr 0xfff
	v_mul_f32_e32 v2, 0x5f7ffffc, v2
	s_delay_alu instid0(VALU_DEP_1) | instskip(NEXT) | instid1(VALU_DEP_1)
	v_mul_f32_e32 v7, 0x2f800000, v2
	v_trunc_f32_e32 v7, v7
	s_delay_alu instid0(VALU_DEP_1) | instskip(SKIP_1) | instid1(VALU_DEP_2)
	v_fmac_f32_e32 v2, 0xcf800000, v7
	v_cvt_u32_f32_e32 v7, v7
	v_cvt_u32_f32_e32 v2, v2
	s_delay_alu instid0(VALU_DEP_2) | instskip(NEXT) | instid1(VALU_DEP_2)
	v_mul_lo_u32 v8, s2, v7
	v_mul_hi_u32 v10, s2, v2
	v_mul_lo_u32 v11, s20, v2
	s_delay_alu instid0(VALU_DEP_2) | instskip(SKIP_1) | instid1(VALU_DEP_2)
	v_add_nc_u32_e32 v8, v10, v8
	v_mul_lo_u32 v10, s2, v2
	v_add_nc_u32_e32 v8, v8, v11
	s_delay_alu instid0(VALU_DEP_2) | instskip(NEXT) | instid1(VALU_DEP_2)
	v_mul_hi_u32 v11, v2, v10
	v_mul_lo_u32 v12, v2, v8
	v_mul_hi_u32 v13, v2, v8
	v_mul_hi_u32 v14, v7, v10
	v_mul_lo_u32 v10, v7, v10
	v_mul_hi_u32 v15, v7, v8
	v_mul_lo_u32 v8, v7, v8
	v_add_co_u32 v11, vcc_lo, v11, v12
	v_add_co_ci_u32_e32 v12, vcc_lo, 0, v13, vcc_lo
	s_delay_alu instid0(VALU_DEP_2) | instskip(NEXT) | instid1(VALU_DEP_2)
	v_add_co_u32 v10, vcc_lo, v11, v10
	v_add_co_ci_u32_e32 v10, vcc_lo, v12, v14, vcc_lo
	v_add_co_ci_u32_e32 v11, vcc_lo, 0, v15, vcc_lo
	s_delay_alu instid0(VALU_DEP_2) | instskip(NEXT) | instid1(VALU_DEP_2)
	v_add_co_u32 v8, vcc_lo, v10, v8
	v_add_co_ci_u32_e32 v10, vcc_lo, 0, v11, vcc_lo
	s_delay_alu instid0(VALU_DEP_2) | instskip(NEXT) | instid1(VALU_DEP_2)
	v_add_co_u32 v2, vcc_lo, v2, v8
	v_add_co_ci_u32_e32 v7, vcc_lo, v7, v10, vcc_lo
	s_delay_alu instid0(VALU_DEP_2) | instskip(SKIP_1) | instid1(VALU_DEP_3)
	v_mul_hi_u32 v8, s2, v2
	v_mul_lo_u32 v11, s20, v2
	v_mul_lo_u32 v10, s2, v7
	s_delay_alu instid0(VALU_DEP_1) | instskip(SKIP_1) | instid1(VALU_DEP_2)
	v_add_nc_u32_e32 v8, v8, v10
	v_mul_lo_u32 v10, s2, v2
	v_add_nc_u32_e32 v8, v8, v11
	s_delay_alu instid0(VALU_DEP_2) | instskip(NEXT) | instid1(VALU_DEP_2)
	v_mul_hi_u32 v11, v2, v10
	v_mul_lo_u32 v12, v2, v8
	v_mul_hi_u32 v13, v2, v8
	v_mul_hi_u32 v14, v7, v10
	v_mul_lo_u32 v10, v7, v10
	v_mul_hi_u32 v15, v7, v8
	v_mul_lo_u32 v8, v7, v8
	v_add_co_u32 v11, vcc_lo, v11, v12
	v_add_co_ci_u32_e32 v12, vcc_lo, 0, v13, vcc_lo
	s_delay_alu instid0(VALU_DEP_2) | instskip(NEXT) | instid1(VALU_DEP_2)
	v_add_co_u32 v10, vcc_lo, v11, v10
	v_add_co_ci_u32_e32 v10, vcc_lo, v12, v14, vcc_lo
	v_add_co_ci_u32_e32 v11, vcc_lo, 0, v15, vcc_lo
	s_delay_alu instid0(VALU_DEP_2) | instskip(NEXT) | instid1(VALU_DEP_2)
	v_add_co_u32 v8, vcc_lo, v10, v8
	v_add_co_ci_u32_e32 v10, vcc_lo, 0, v11, vcc_lo
	s_delay_alu instid0(VALU_DEP_2) | instskip(NEXT) | instid1(VALU_DEP_2)
	v_add_co_u32 v2, vcc_lo, v2, v8
	v_add_co_ci_u32_e32 v14, vcc_lo, v7, v10, vcc_lo
	s_delay_alu instid0(VALU_DEP_2) | instskip(SKIP_1) | instid1(VALU_DEP_3)
	v_mul_hi_u32 v15, v5, v2
	v_mad_u64_u32 v[10:11], null, v6, v2, 0
	v_mad_u64_u32 v[7:8], null, v5, v14, 0
	;; [unrolled: 1-line block ×3, first 2 shown]
	s_delay_alu instid0(VALU_DEP_2) | instskip(NEXT) | instid1(VALU_DEP_3)
	v_add_co_u32 v2, vcc_lo, v15, v7
	v_add_co_ci_u32_e32 v7, vcc_lo, 0, v8, vcc_lo
	s_delay_alu instid0(VALU_DEP_2) | instskip(NEXT) | instid1(VALU_DEP_2)
	v_add_co_u32 v2, vcc_lo, v2, v10
	v_add_co_ci_u32_e32 v2, vcc_lo, v7, v11, vcc_lo
	v_add_co_ci_u32_e32 v7, vcc_lo, 0, v13, vcc_lo
	s_delay_alu instid0(VALU_DEP_2) | instskip(NEXT) | instid1(VALU_DEP_2)
	v_add_co_u32 v2, vcc_lo, v2, v12
	v_add_co_ci_u32_e32 v10, vcc_lo, 0, v7, vcc_lo
	s_delay_alu instid0(VALU_DEP_2) | instskip(SKIP_1) | instid1(VALU_DEP_3)
	v_mul_lo_u32 v11, s19, v2
	v_mad_u64_u32 v[7:8], null, s18, v2, 0
	v_mul_lo_u32 v12, s18, v10
	s_delay_alu instid0(VALU_DEP_2) | instskip(NEXT) | instid1(VALU_DEP_2)
	v_sub_co_u32 v7, vcc_lo, v5, v7
	v_add3_u32 v8, v8, v12, v11
	s_delay_alu instid0(VALU_DEP_1) | instskip(NEXT) | instid1(VALU_DEP_1)
	v_sub_nc_u32_e32 v11, v6, v8
	v_subrev_co_ci_u32_e64 v11, s2, s19, v11, vcc_lo
	v_add_co_u32 v12, s2, v2, 2
	s_delay_alu instid0(VALU_DEP_1) | instskip(SKIP_3) | instid1(VALU_DEP_3)
	v_add_co_ci_u32_e64 v13, s2, 0, v10, s2
	v_sub_co_u32 v14, s2, v7, s18
	v_sub_co_ci_u32_e32 v8, vcc_lo, v6, v8, vcc_lo
	v_subrev_co_ci_u32_e64 v11, s2, 0, v11, s2
	v_cmp_le_u32_e32 vcc_lo, s18, v14
	s_delay_alu instid0(VALU_DEP_3) | instskip(SKIP_1) | instid1(VALU_DEP_4)
	v_cmp_eq_u32_e64 s2, s19, v8
	v_cndmask_b32_e64 v14, 0, -1, vcc_lo
	v_cmp_le_u32_e32 vcc_lo, s19, v11
	v_cndmask_b32_e64 v15, 0, -1, vcc_lo
	v_cmp_le_u32_e32 vcc_lo, s18, v7
	;; [unrolled: 2-line block ×3, first 2 shown]
	v_cndmask_b32_e64 v16, 0, -1, vcc_lo
	v_cmp_eq_u32_e32 vcc_lo, s19, v11
	s_delay_alu instid0(VALU_DEP_2) | instskip(SKIP_3) | instid1(VALU_DEP_3)
	v_cndmask_b32_e64 v7, v16, v7, s2
	v_cndmask_b32_e32 v11, v15, v14, vcc_lo
	v_add_co_u32 v14, vcc_lo, v2, 1
	v_add_co_ci_u32_e32 v15, vcc_lo, 0, v10, vcc_lo
	v_cmp_ne_u32_e32 vcc_lo, 0, v11
	s_delay_alu instid0(VALU_DEP_2) | instskip(SKIP_1) | instid1(VALU_DEP_2)
	v_dual_cndmask_b32 v8, v15, v13 :: v_dual_cndmask_b32 v11, v14, v12
	v_cmp_ne_u32_e32 vcc_lo, 0, v7
	v_cndmask_b32_e32 v7, v2, v11, vcc_lo
	s_delay_alu instid0(VALU_DEP_3)
	v_cndmask_b32_e32 v8, v10, v8, vcc_lo
.LBB0_4:                                ;   in Loop: Header=BB0_2 Depth=1
	s_and_not1_saveexec_b32 s2, s3
	s_cbranch_execz .LBB0_6
; %bb.5:                                ;   in Loop: Header=BB0_2 Depth=1
	v_cvt_f32_u32_e32 v2, s18
	s_sub_i32 s3, 0, s18
	s_delay_alu instid0(VALU_DEP_1) | instskip(SKIP_2) | instid1(VALU_DEP_1)
	v_rcp_iflag_f32_e32 v2, v2
	s_waitcnt_depctr 0xfff
	v_mul_f32_e32 v2, 0x4f7ffffe, v2
	v_cvt_u32_f32_e32 v2, v2
	s_delay_alu instid0(VALU_DEP_1) | instskip(NEXT) | instid1(VALU_DEP_1)
	v_mul_lo_u32 v7, s3, v2
	v_mul_hi_u32 v7, v2, v7
	s_delay_alu instid0(VALU_DEP_1) | instskip(NEXT) | instid1(VALU_DEP_1)
	v_add_nc_u32_e32 v2, v2, v7
	v_mul_hi_u32 v2, v5, v2
	s_delay_alu instid0(VALU_DEP_1) | instskip(SKIP_1) | instid1(VALU_DEP_2)
	v_mul_lo_u32 v7, v2, s18
	v_add_nc_u32_e32 v8, 1, v2
	v_sub_nc_u32_e32 v7, v5, v7
	s_delay_alu instid0(VALU_DEP_1) | instskip(SKIP_1) | instid1(VALU_DEP_2)
	v_subrev_nc_u32_e32 v10, s18, v7
	v_cmp_le_u32_e32 vcc_lo, s18, v7
	v_dual_cndmask_b32 v7, v7, v10 :: v_dual_cndmask_b32 v2, v2, v8
	s_delay_alu instid0(VALU_DEP_1) | instskip(NEXT) | instid1(VALU_DEP_2)
	v_cmp_le_u32_e32 vcc_lo, s18, v7
	v_add_nc_u32_e32 v8, 1, v2
	s_delay_alu instid0(VALU_DEP_1)
	v_dual_cndmask_b32 v7, v2, v8 :: v_dual_mov_b32 v8, v1
.LBB0_6:                                ;   in Loop: Header=BB0_2 Depth=1
	s_or_b32 exec_lo, exec_lo, s2
	s_load_b64 s[2:3], s[12:13], 0x0
	s_delay_alu instid0(VALU_DEP_1) | instskip(NEXT) | instid1(VALU_DEP_2)
	v_mul_lo_u32 v2, v8, s18
	v_mul_lo_u32 v12, v7, s19
	v_mad_u64_u32 v[10:11], null, v7, s18, 0
	s_add_u32 s16, s16, 1
	s_addc_u32 s17, s17, 0
	s_add_u32 s12, s12, 8
	s_addc_u32 s13, s13, 0
	;; [unrolled: 2-line block ×3, first 2 shown]
	s_delay_alu instid0(VALU_DEP_1) | instskip(SKIP_1) | instid1(VALU_DEP_2)
	v_add3_u32 v2, v11, v12, v2
	v_sub_co_u32 v10, vcc_lo, v5, v10
	v_sub_co_ci_u32_e32 v2, vcc_lo, v6, v2, vcc_lo
	s_waitcnt lgkmcnt(0)
	s_delay_alu instid0(VALU_DEP_2) | instskip(NEXT) | instid1(VALU_DEP_2)
	v_mul_lo_u32 v11, s3, v10
	v_mul_lo_u32 v2, s2, v2
	v_mad_u64_u32 v[5:6], null, s2, v10, v[3:4]
	v_cmp_ge_u64_e64 s2, s[16:17], s[6:7]
	s_delay_alu instid0(VALU_DEP_1) | instskip(NEXT) | instid1(VALU_DEP_2)
	s_and_b32 vcc_lo, exec_lo, s2
	v_add3_u32 v4, v11, v6, v2
	s_delay_alu instid0(VALU_DEP_3)
	v_mov_b32_e32 v3, v5
	s_cbranch_vccnz .LBB0_9
; %bb.7:                                ;   in Loop: Header=BB0_2 Depth=1
	v_dual_mov_b32 v5, v7 :: v_dual_mov_b32 v6, v8
	s_branch .LBB0_2
.LBB0_8:
	v_dual_mov_b32 v8, v6 :: v_dual_mov_b32 v7, v5
.LBB0_9:
	s_lshl_b64 s[2:3], s[6:7], 3
	v_mul_hi_u32 v1, 0x2d82d83, v0
	s_add_u32 s2, s10, s2
	s_addc_u32 s3, s11, s3
	s_load_b64 s[6:7], s[0:1], 0x20
	s_load_b64 s[2:3], s[2:3], 0x0
	v_and_b32_e32 v2, 1, v9
	s_delay_alu instid0(VALU_DEP_2) | instskip(NEXT) | instid1(VALU_DEP_2)
	v_mul_u32_u24_e32 v1, 0x5a, v1
	v_cmp_eq_u32_e64 s0, 1, v2
	s_delay_alu instid0(VALU_DEP_2) | instskip(NEXT) | instid1(VALU_DEP_1)
	v_sub_nc_u32_e32 v12, v0, v1
	v_add_nc_u32_e32 v17, 0x5a, v12
	v_add_nc_u32_e32 v19, 0xb4, v12
	;; [unrolled: 1-line block ×3, first 2 shown]
	s_waitcnt lgkmcnt(0)
	v_cmp_gt_u64_e32 vcc_lo, s[6:7], v[7:8]
	v_mul_lo_u32 v5, s2, v8
	v_mul_lo_u32 v6, s3, v7
	v_mad_u64_u32 v[0:1], null, s2, v7, v[3:4]
	v_cmp_le_u64_e64 s1, s[6:7], v[7:8]
	s_delay_alu instid0(VALU_DEP_2) | instskip(NEXT) | instid1(VALU_DEP_2)
	v_add3_u32 v1, v6, v1, v5
	s_and_saveexec_b32 s2, s1
	s_delay_alu instid0(SALU_CYCLE_1)
	s_xor_b32 s1, exec_lo, s2
; %bb.10:
	v_add_nc_u32_e32 v17, 0x5a, v12
	v_add_nc_u32_e32 v19, 0xb4, v12
	;; [unrolled: 1-line block ×3, first 2 shown]
; %bb.11:
	s_or_saveexec_b32 s1, s1
	v_cndmask_b32_e64 v2, 0, 0x385, s0
	v_lshlrev_b64 v[14:15], 3, v[0:1]
	v_lshlrev_b32_e32 v18, 3, v12
	s_delay_alu instid0(VALU_DEP_3)
	v_lshlrev_b32_e32 v39, 3, v2
	s_xor_b32 exec_lo, exec_lo, s1
	s_cbranch_execz .LBB0_13
; %bb.12:
	v_mov_b32_e32 v13, 0
	v_add_co_u32 v2, s0, s8, v14
	s_delay_alu instid0(VALU_DEP_1) | instskip(NEXT) | instid1(VALU_DEP_3)
	v_add_co_ci_u32_e64 v3, s0, s9, v15, s0
	v_lshlrev_b64 v[0:1], 3, v[12:13]
	v_add3_u32 v13, 0, v39, v18
	s_delay_alu instid0(VALU_DEP_1) | instskip(NEXT) | instid1(VALU_DEP_3)
	v_add_nc_u32_e32 v28, 0x400, v13
	v_add_co_u32 v0, s0, v2, v0
	s_delay_alu instid0(VALU_DEP_1) | instskip(SKIP_1) | instid1(VALU_DEP_3)
	v_add_co_ci_u32_e64 v1, s0, v3, v1, s0
	v_add_nc_u32_e32 v29, 0x800, v13
	v_add_co_u32 v2, s0, 0x1000, v0
	s_delay_alu instid0(VALU_DEP_1)
	v_add_co_ci_u32_e64 v3, s0, 0, v1, s0
	s_clause 0x9
	global_load_b64 v[4:5], v[0:1], off
	global_load_b64 v[6:7], v[0:1], off offset:720
	global_load_b64 v[8:9], v[0:1], off offset:1440
	;; [unrolled: 1-line block ×9, first 2 shown]
	v_add_nc_u32_e32 v30, 0x1000, v13
	v_add_nc_u32_e32 v31, 0x1400, v13
	s_waitcnt vmcnt(8)
	ds_store_2addr_b64 v13, v[4:5], v[6:7] offset1:90
	s_waitcnt vmcnt(6)
	ds_store_2addr_b64 v28, v[8:9], v[10:11] offset0:52 offset1:142
	s_waitcnt vmcnt(4)
	ds_store_2addr_b64 v29, v[20:21], v[0:1] offset0:104 offset1:194
	;; [unrolled: 2-line block ×4, first 2 shown]
.LBB0_13:
	s_or_b32 exec_lo, exec_lo, s1
	s_delay_alu instid0(VALU_DEP_1)
	v_add3_u32 v35, 0, v18, v39
	v_add_nc_u32_e32 v13, 0, v39
	s_waitcnt lgkmcnt(0)
	s_barrier
	buffer_gl0_inv
	v_add_nc_u32_e32 v0, 0x800, v35
	v_add_nc_u32_e32 v34, v13, v18
	;; [unrolled: 1-line block ×4, first 2 shown]
	ds_load_2addr_b64 v[3:6], v35 offset0:90 offset1:180
	ds_load_2addr_b64 v[7:10], v0 offset0:14 offset1:104
	ds_load_b64 v[28:29], v34
	ds_load_2addr_b64 v[20:23], v1 offset0:66 offset1:156
	ds_load_2addr_b64 v[24:27], v2 offset0:118 offset1:208
	ds_load_b64 v[30:31], v35 offset:6480
	s_waitcnt lgkmcnt(0)
	s_barrier
	buffer_gl0_inv
	v_cmp_gt_u32_e64 s0, 30, v12
	v_sub_f32_e32 v37, v5, v9
	v_dual_add_f32 v11, v28, v5 :: v_dual_add_f32 v32, v9, v22
	v_sub_f32_e32 v33, v6, v27
	v_dual_sub_f32 v36, v10, v23 :: v_dual_sub_f32 v41, v9, v5
	v_sub_f32_e32 v38, v26, v22
	v_add_f32_e32 v40, v5, v26
	v_dual_add_f32 v43, v29, v6 :: v_dual_add_f32 v44, v10, v23
	v_sub_f32_e32 v45, v9, v22
	v_add_f32_e32 v9, v11, v9
	v_fma_f32 v11, -0.5, v32, v28
	v_sub_f32_e32 v42, v22, v26
	v_add_f32_e32 v32, v37, v38
	v_fma_f32 v28, -0.5, v40, v28
	v_dual_sub_f32 v5, v5, v26 :: v_dual_add_f32 v46, v6, v27
	s_delay_alu instid0(VALU_DEP_4) | instskip(SKIP_4) | instid1(VALU_DEP_4)
	v_add_f32_e32 v37, v41, v42
	v_dual_fmamk_f32 v41, v33, 0xbf737871, v11 :: v_dual_add_f32 v38, v43, v10
	v_fmac_f32_e32 v11, 0x3f737871, v33
	v_fma_f32 v40, -0.5, v44, v29
	v_fmamk_f32 v42, v36, 0x3f737871, v28
	v_fmac_f32_e32 v41, 0xbf167918, v36
	v_dual_add_f32 v9, v9, v22 :: v_dual_add_f32 v22, v38, v23
	v_fmac_f32_e32 v28, 0xbf737871, v36
	v_fmac_f32_e32 v11, 0x3f167918, v36
	v_fmamk_f32 v38, v5, 0x3f737871, v40
	v_dual_fmac_f32 v42, 0xbf167918, v33 :: v_dual_fmac_f32 v29, -0.5, v46
	v_add_f32_e32 v26, v9, v26
	v_dual_fmac_f32 v28, 0x3f167918, v33 :: v_dual_add_f32 v33, v22, v27
	s_delay_alu instid0(VALU_DEP_3) | instskip(SKIP_1) | instid1(VALU_DEP_3)
	v_dual_fmac_f32 v41, 0x3e9e377a, v32 :: v_dual_fmac_f32 v42, 0x3e9e377a, v37
	v_dual_fmac_f32 v11, 0x3e9e377a, v32 :: v_dual_sub_f32 v32, v27, v23
	v_dual_sub_f32 v9, v6, v10 :: v_dual_fmac_f32 v28, 0x3e9e377a, v37
	v_sub_f32_e32 v6, v10, v6
	v_fmac_f32_e32 v38, 0x3f167918, v45
	v_add_f32_e32 v22, v20, v24
	s_delay_alu instid0(VALU_DEP_4) | instskip(SKIP_4) | instid1(VALU_DEP_4)
	v_add_f32_e32 v9, v9, v32
	v_fmamk_f32 v32, v45, 0xbf737871, v29
	v_dual_fmac_f32 v29, 0x3f737871, v45 :: v_dual_sub_f32 v10, v23, v27
	v_sub_f32_e32 v27, v7, v20
	v_sub_f32_e32 v36, v30, v24
	v_fmac_f32_e32 v32, 0x3f167918, v5
	s_delay_alu instid0(VALU_DEP_4)
	v_dual_fmac_f32 v29, 0xbf167918, v5 :: v_dual_add_f32 v6, v6, v10
	v_add_f32_e32 v10, v3, v7
	v_sub_f32_e32 v23, v8, v31
	v_add_f32_e32 v37, v7, v30
	v_add_f32_e32 v27, v27, v36
	v_fmac_f32_e32 v29, 0x3e9e377a, v6
	v_dual_fmac_f32 v40, 0xbf737871, v5 :: v_dual_add_f32 v5, v10, v20
	v_fmac_f32_e32 v38, 0x3e9e377a, v9
	s_delay_alu instid0(VALU_DEP_2) | instskip(NEXT) | instid1(VALU_DEP_1)
	v_dual_fmac_f32 v40, 0xbf167918, v45 :: v_dual_add_f32 v5, v5, v24
	v_fmac_f32_e32 v40, 0x3e9e377a, v9
	v_sub_f32_e32 v9, v21, v25
	v_fma_f32 v22, -0.5, v22, v3
	s_delay_alu instid0(VALU_DEP_4) | instskip(SKIP_2) | instid1(VALU_DEP_4)
	v_dual_add_f32 v36, v5, v30 :: v_dual_sub_f32 v5, v20, v7
	v_fmac_f32_e32 v32, 0x3e9e377a, v6
	v_fma_f32 v6, -0.5, v37, v3
	v_dual_fmamk_f32 v10, v23, 0xbf737871, v22 :: v_dual_sub_f32 v37, v24, v30
	v_dual_fmac_f32 v22, 0x3f737871, v23 :: v_dual_add_f32 v3, v21, v25
	s_delay_alu instid0(VALU_DEP_2) | instskip(NEXT) | instid1(VALU_DEP_3)
	v_fmac_f32_e32 v10, 0xbf167918, v9
	v_add_f32_e32 v5, v5, v37
	s_delay_alu instid0(VALU_DEP_3) | instskip(NEXT) | instid1(VALU_DEP_4)
	v_fma_f32 v43, -0.5, v3, v4
	v_dual_sub_f32 v3, v7, v30 :: v_dual_fmac_f32 v22, 0x3f167918, v9
	v_add_f32_e32 v7, v8, v31
	v_fmac_f32_e32 v10, 0x3e9e377a, v27
	s_delay_alu instid0(VALU_DEP_3) | instskip(SKIP_4) | instid1(VALU_DEP_4)
	v_fmac_f32_e32 v22, 0x3e9e377a, v27
	v_fmamk_f32 v27, v9, 0x3f737871, v6
	v_dual_fmac_f32 v6, 0xbf737871, v9 :: v_dual_sub_f32 v9, v20, v24
	v_fma_f32 v24, -0.5, v7, v4
	v_dual_add_f32 v4, v4, v8 :: v_dual_sub_f32 v7, v31, v25
	v_fmac_f32_e32 v27, 0xbf167918, v23
	s_delay_alu instid0(VALU_DEP_4) | instskip(SKIP_2) | instid1(VALU_DEP_4)
	v_fmac_f32_e32 v6, 0x3f167918, v23
	v_fmamk_f32 v23, v3, 0x3f737871, v43
	v_dual_fmac_f32 v43, 0xbf737871, v3 :: v_dual_fmamk_f32 v30, v9, 0xbf737871, v24
	v_dual_fmac_f32 v27, 0x3e9e377a, v5 :: v_dual_sub_f32 v20, v25, v31
	s_delay_alu instid0(VALU_DEP_3)
	v_fmac_f32_e32 v23, 0x3f167918, v9
	v_fmac_f32_e32 v6, 0x3e9e377a, v5
	v_dual_sub_f32 v5, v8, v21 :: v_dual_sub_f32 v8, v21, v8
	v_fmac_f32_e32 v43, 0xbf167918, v9
	v_fmac_f32_e32 v24, 0x3f737871, v9
	;; [unrolled: 1-line block ×3, first 2 shown]
	s_delay_alu instid0(VALU_DEP_4) | instskip(NEXT) | instid1(VALU_DEP_3)
	v_dual_add_f32 v5, v5, v7 :: v_dual_mul_f32 v46, 0x3f167918, v10
	v_dual_fmac_f32 v24, 0xbf167918, v3 :: v_dual_add_f32 v3, v4, v21
	v_add_f32_e32 v7, v8, v20
	s_delay_alu instid0(VALU_DEP_3) | instskip(NEXT) | instid1(VALU_DEP_3)
	v_fmac_f32_e32 v43, 0x3e9e377a, v5
	v_dual_add_f32 v3, v3, v25 :: v_dual_and_b32 v8, 0xff, v12
	s_delay_alu instid0(VALU_DEP_3) | instskip(NEXT) | instid1(VALU_DEP_2)
	v_dual_fmac_f32 v23, 0x3e9e377a, v5 :: v_dual_fmac_f32 v30, 0x3e9e377a, v7
	v_add_f32_e32 v31, v3, v31
	v_dual_add_f32 v3, v26, v36 :: v_dual_fmac_f32 v24, 0x3e9e377a, v7
	s_delay_alu instid0(VALU_DEP_3) | instskip(NEXT) | instid1(VALU_DEP_4)
	v_mul_f32_e32 v37, 0xbf737871, v30
	v_fmac_f32_e32 v46, 0x3f4f1bbd, v23
	v_mul_f32_e32 v45, 0xbf167918, v43
	v_mul_f32_e32 v43, 0xbf4f1bbd, v43
	;; [unrolled: 1-line block ×4, first 2 shown]
	s_delay_alu instid0(VALU_DEP_3) | instskip(NEXT) | instid1(VALU_DEP_3)
	v_fmac_f32_e32 v43, 0x3f167918, v22
	v_fmac_f32_e32 v44, 0xbe9e377a, v6
	v_mul_f32_e32 v48, 0xbe9e377a, v24
	v_add_f32_e32 v4, v33, v31
	s_delay_alu instid0(VALU_DEP_4) | instskip(NEXT) | instid1(VALU_DEP_4)
	v_add_f32_e32 v21, v40, v43
	v_add_f32_e32 v9, v28, v44
	s_delay_alu instid0(VALU_DEP_4)
	v_dual_fmac_f32 v47, 0x3f737871, v27 :: v_dual_fmac_f32 v48, 0x3f737871, v6
	v_add_f32_e32 v6, v38, v46
	v_fmac_f32_e32 v45, 0xbf4f1bbd, v22
	v_mul_f32_e32 v25, 0xbf167918, v23
	v_fmac_f32_e32 v37, 0x3e9e377a, v27
	v_dual_sub_f32 v23, v33, v31 :: v_dual_sub_f32 v22, v26, v36
	s_delay_alu instid0(VALU_DEP_3) | instskip(SKIP_3) | instid1(VALU_DEP_4)
	v_dual_add_f32 v20, v11, v45 :: v_dual_fmac_f32 v25, 0x3f4f1bbd, v10
	v_mul_lo_u16 v10, 0xcd, v8
	v_add_f32_e32 v8, v32, v47
	v_sub_f32_e32 v30, v11, v45
	v_dual_sub_f32 v28, v28, v44 :: v_dual_add_f32 v5, v41, v25
	s_delay_alu instid0(VALU_DEP_4) | instskip(SKIP_3) | instid1(VALU_DEP_4)
	v_lshrrev_b16 v52, 11, v10
	v_sub_f32_e32 v24, v41, v25
	v_dual_add_f32 v10, v29, v48 :: v_dual_add_f32 v7, v42, v37
	v_sub_f32_e32 v26, v42, v37
	v_mul_lo_u16 v25, v52, 10
	v_sub_f32_e32 v27, v32, v47
	v_sub_f32_e32 v29, v29, v48
	v_sub_f32_e32 v31, v40, v43
	v_mad_u32_u24 v32, 0x48, v12, v35
	v_sub_nc_u16 v11, v12, v25
	v_dual_sub_f32 v25, v38, v46 :: v_dual_and_b32 v40, 0xffff, v52
	ds_store_2addr_b64 v32, v[3:4], v[5:6] offset1:1
	ds_store_2addr_b64 v32, v[7:8], v[9:10] offset0:2 offset1:3
	ds_store_2addr_b64 v32, v[20:21], v[22:23] offset0:4 offset1:5
	;; [unrolled: 1-line block ×3, first 2 shown]
	v_and_b32_e32 v11, 0xff, v11
	ds_store_2addr_b64 v32, v[28:29], v[30:31] offset0:8 offset1:9
	s_waitcnt lgkmcnt(0)
	s_barrier
	buffer_gl0_inv
	v_mul_u32_u24_e32 v33, 9, v11
	v_lshl_add_u32 v38, v17, 3, v13
	v_lshl_add_u32 v37, v19, 3, v13
	;; [unrolled: 1-line block ×3, first 2 shown]
	v_mad_u32_u24 v57, 0x320, v40, 0
	v_lshlrev_b32_e32 v33, 3, v33
	s_clause 0x4
	global_load_b128 v[3:6], v33, s[4:5]
	global_load_b128 v[7:10], v33, s[4:5] offset:16
	global_load_b128 v[20:23], v33, s[4:5] offset:32
	;; [unrolled: 1-line block ×3, first 2 shown]
	global_load_b64 v[32:33], v33, s[4:5] offset:64
	ds_load_b64 v[48:49], v38
	ds_load_b64 v[50:51], v37
	v_add_nc_u32_e32 v56, 0x1400, v35
	ds_load_b64 v[52:53], v36
	ds_load_2addr_b64 v[28:31], v0 offset0:104 offset1:194
	ds_load_2addr_b64 v[40:43], v2 offset0:28 offset1:118
	s_waitcnt vmcnt(4) lgkmcnt(4)
	v_dual_mul_f32 v11, v4, v49 :: v_dual_lshlrev_b32 v2, 3, v11
	s_waitcnt vmcnt(3) lgkmcnt(1)
	v_mul_f32_e32 v59, v10, v29
	ds_load_2addr_b64 v[44:47], v56 offset0:80 offset1:170
	ds_load_b64 v[54:55], v34
	v_add3_u32 v57, v57, v2, v39
	v_mul_f32_e32 v2, v4, v48
	v_mul_f32_e32 v4, v6, v51
	v_mul_f32_e32 v6, v6, v50
	v_mul_f32_e32 v58, v8, v53
	s_waitcnt vmcnt(2) lgkmcnt(2)
	v_dual_mul_f32 v8, v8, v52 :: v_dual_mul_f32 v61, v41, v23
	v_mul_f32_e32 v10, v10, v28
	v_mul_f32_e32 v60, v21, v31
	;; [unrolled: 1-line block ×3, first 2 shown]
	s_waitcnt vmcnt(1)
	v_dual_mul_f32 v23, v40, v23 :: v_dual_mul_f32 v62, v43, v25
	v_mul_f32_e32 v25, v42, v25
	v_dual_fmac_f32 v11, v3, v48 :: v_dual_fmac_f32 v60, v20, v30
	v_fma_f32 v48, v3, v49, -v2
	v_fmac_f32_e32 v4, v5, v50
	v_fma_f32 v2, v5, v51, -v6
	s_waitcnt vmcnt(0) lgkmcnt(1)
	v_dual_mul_f32 v63, v45, v27 :: v_dual_mul_f32 v64, v47, v33
	v_mul_f32_e32 v27, v44, v27
	v_dual_mul_f32 v33, v46, v33 :: v_dual_fmac_f32 v58, v7, v52
	v_fma_f32 v3, v7, v53, -v8
	v_fmac_f32_e32 v59, v9, v28
	v_fma_f32 v5, v9, v29, -v10
	v_fma_f32 v6, v20, v31, -v21
	v_dual_fmac_f32 v61, v40, v22 :: v_dual_fmac_f32 v62, v42, v24
	v_fma_f32 v7, v41, v22, -v23
	v_fma_f32 v8, v43, v24, -v25
	v_dual_fmac_f32 v63, v44, v26 :: v_dual_fmac_f32 v64, v46, v32
	v_fma_f32 v9, v45, v26, -v27
	v_fma_f32 v10, v47, v32, -v33
	v_dual_sub_f32 v23, v5, v7 :: v_dual_sub_f32 v32, v2, v5
	s_delay_alu instid0(VALU_DEP_4) | instskip(NEXT) | instid1(VALU_DEP_4)
	v_sub_f32_e32 v25, v63, v61
	v_sub_f32_e32 v22, v2, v9
	s_waitcnt lgkmcnt(0)
	v_dual_add_f32 v20, v54, v4 :: v_dual_add_f32 v21, v59, v61
	v_sub_f32_e32 v24, v4, v59
	v_dual_add_f32 v26, v4, v63 :: v_dual_sub_f32 v27, v59, v4
	v_dual_sub_f32 v28, v61, v63 :: v_dual_add_f32 v29, v55, v2
	v_dual_add_f32 v30, v5, v7 :: v_dual_sub_f32 v31, v59, v61
	v_dual_sub_f32 v4, v4, v63 :: v_dual_sub_f32 v41, v7, v9
	v_dual_sub_f32 v33, v9, v7 :: v_dual_add_f32 v40, v2, v9
	v_dual_sub_f32 v2, v5, v2 :: v_dual_sub_f32 v45, v6, v8
	v_dual_add_f32 v42, v11, v58 :: v_dual_add_f32 v49, v58, v64
	v_dual_add_f32 v43, v60, v62 :: v_dual_sub_f32 v46, v58, v60
	v_sub_f32_e32 v47, v64, v62
	v_dual_sub_f32 v50, v60, v58 :: v_dual_add_f32 v53, v6, v8
	v_dual_add_f32 v68, v3, v10 :: v_dual_add_f32 v5, v29, v5
	v_dual_sub_f32 v44, v3, v10 :: v_dual_sub_f32 v51, v62, v64
	v_dual_add_f32 v52, v48, v3 :: v_dual_sub_f32 v67, v10, v8
	v_dual_sub_f32 v58, v58, v64 :: v_dual_sub_f32 v65, v60, v62
	v_dual_sub_f32 v66, v3, v6 :: v_dual_sub_f32 v3, v6, v3
	v_dual_sub_f32 v69, v8, v10 :: v_dual_add_f32 v2, v2, v41
	v_add_f32_e32 v20, v20, v59
	v_fma_f32 v21, -0.5, v21, v54
	v_add_f32_e32 v24, v24, v25
	v_fma_f32 v25, -0.5, v26, v54
	;; [unrolled: 2-line block ×3, first 2 shown]
	v_dual_add_f32 v27, v32, v33 :: v_dual_add_f32 v28, v42, v60
	v_fmac_f32_e32 v55, -0.5, v40
	v_fma_f32 v29, -0.5, v43, v11
	v_dual_add_f32 v32, v46, v47 :: v_dual_fmac_f32 v11, -0.5, v49
	v_fma_f32 v40, -0.5, v53, v48
	v_dual_fmac_f32 v48, -0.5, v68 :: v_dual_add_f32 v3, v3, v69
	v_dual_add_f32 v33, v50, v51 :: v_dual_add_f32 v6, v52, v6
	v_dual_add_f32 v41, v66, v67 :: v_dual_add_f32 v20, v20, v61
	v_dual_fmamk_f32 v42, v22, 0xbf737871, v21 :: v_dual_add_f32 v5, v5, v7
	v_fmac_f32_e32 v21, 0x3f737871, v22
	v_dual_add_f32 v7, v28, v62 :: v_dual_fmamk_f32 v50, v65, 0xbf737871, v48
	s_delay_alu instid0(VALU_DEP_3)
	v_dual_fmamk_f32 v28, v44, 0xbf737871, v29 :: v_dual_add_f32 v5, v5, v9
	v_dual_fmac_f32 v29, 0x3f737871, v44 :: v_dual_fmac_f32 v48, 0x3f737871, v65
	v_dual_fmamk_f32 v49, v45, 0x3f737871, v11 :: v_dual_add_f32 v20, v20, v63
	v_dual_fmamk_f32 v43, v23, 0x3f737871, v25 :: v_dual_fmamk_f32 v46, v4, 0x3f737871, v30
	v_dual_fmac_f32 v25, 0xbf737871, v23 :: v_dual_fmac_f32 v30, 0xbf737871, v4
	v_dual_fmamk_f32 v47, v31, 0xbf737871, v55 :: v_dual_add_f32 v6, v6, v8
	v_dual_fmac_f32 v55, 0x3f737871, v31 :: v_dual_fmamk_f32 v8, v58, 0x3f737871, v40
	v_dual_fmac_f32 v11, 0xbf737871, v45 :: v_dual_fmac_f32 v40, 0xbf737871, v58
	v_dual_fmac_f32 v28, 0xbf167918, v45 :: v_dual_fmac_f32 v49, 0xbf167918, v44
	;; [unrolled: 1-line block ×4, first 2 shown]
	v_fmac_f32_e32 v21, 0x3f167918, v23
	v_dual_fmac_f32 v25, 0x3f167918, v22 :: v_dual_fmac_f32 v46, 0x3f167918, v31
	v_dual_fmac_f32 v30, 0xbf167918, v31 :: v_dual_fmac_f32 v55, 0xbf167918, v4
	v_dual_fmac_f32 v47, 0x3f167918, v4 :: v_dual_add_f32 v6, v6, v10
	v_add_f32_e32 v4, v7, v64
	v_dual_fmac_f32 v11, 0x3f167918, v44 :: v_dual_fmac_f32 v8, 0x3f167918, v65
	v_fmac_f32_e32 v48, 0xbf167918, v58
	v_dual_fmac_f32 v49, 0x3e9e377a, v33 :: v_dual_fmac_f32 v50, 0x3e9e377a, v3
	v_fmac_f32_e32 v40, 0xbf167918, v65
	v_dual_fmac_f32 v42, 0x3e9e377a, v24 :: v_dual_fmac_f32 v43, 0x3e9e377a, v26
	v_dual_fmac_f32 v25, 0x3e9e377a, v26 :: v_dual_fmac_f32 v30, 0x3e9e377a, v27
	;; [unrolled: 1-line block ×5, first 2 shown]
	v_add_f32_e32 v2, v20, v4
	v_dual_sub_f32 v4, v20, v4 :: v_dual_mul_f32 v33, 0x3e9e377a, v50
	v_mul_f32_e32 v26, 0xbf737871, v50
	v_dual_fmac_f32 v21, 0x3e9e377a, v24 :: v_dual_fmac_f32 v46, 0x3e9e377a, v27
	v_add_f32_e32 v3, v5, v6
	v_dual_fmac_f32 v29, 0x3e9e377a, v32 :: v_dual_fmac_f32 v40, 0x3e9e377a, v41
	v_mul_f32_e32 v27, 0xbf737871, v48
	v_fmac_f32_e32 v26, 0x3e9e377a, v49
	v_mul_f32_e32 v41, 0xbe9e377a, v48
	v_fmac_f32_e32 v33, 0x3f737871, v49
	v_mul_f32_e32 v20, 0xbf167918, v8
	v_mul_f32_e32 v31, 0xbf167918, v40
	v_dual_mul_f32 v40, 0xbf4f1bbd, v40 :: v_dual_sub_f32 v5, v5, v6
	s_delay_alu instid0(VALU_DEP_3) | instskip(SKIP_4) | instid1(VALU_DEP_3)
	v_dual_add_f32 v9, v47, v33 :: v_dual_fmac_f32 v20, 0x3f4f1bbd, v28
	v_fmac_f32_e32 v41, 0x3f737871, v11
	v_mul_f32_e32 v32, 0x3f4f1bbd, v8
	v_fmac_f32_e32 v27, 0xbe9e377a, v11
	v_fmac_f32_e32 v31, 0xbf4f1bbd, v29
	v_dual_add_f32 v11, v55, v41 :: v_dual_fmac_f32 v32, 0x3f167918, v28
	v_fmac_f32_e32 v40, 0x3f167918, v29
	s_delay_alu instid0(VALU_DEP_4)
	v_add_f32_e32 v10, v25, v27
	v_dual_sub_f32 v28, v25, v27 :: v_dual_sub_f32 v27, v47, v33
	v_add_f32_e32 v6, v42, v20
	v_dual_sub_f32 v24, v42, v20 :: v_dual_sub_f32 v29, v55, v41
	v_sub_f32_e32 v25, v46, v32
	v_dual_add_f32 v7, v46, v32 :: v_dual_add_f32 v8, v43, v26
	v_dual_add_f32 v22, v21, v31 :: v_dual_add_f32 v23, v30, v40
	v_sub_f32_e32 v26, v43, v26
	v_dual_sub_f32 v20, v21, v31 :: v_dual_sub_f32 v21, v30, v40
	s_barrier
	buffer_gl0_inv
	ds_store_2addr_b64 v57, v[2:3], v[6:7] offset1:10
	ds_store_2addr_b64 v57, v[8:9], v[10:11] offset0:20 offset1:30
	ds_store_2addr_b64 v57, v[22:23], v[4:5] offset0:40 offset1:50
	;; [unrolled: 1-line block ×4, first 2 shown]
	s_waitcnt lgkmcnt(0)
	s_barrier
	buffer_gl0_inv
	ds_load_2addr_b64 v[8:11], v0 offset0:44 offset1:134
	ds_load_2addr_b64 v[0:3], v1 offset0:96 offset1:216
	;; [unrolled: 1-line block ×3, first 2 shown]
	ds_load_b64 v[22:23], v34
	ds_load_b64 v[28:29], v38
	;; [unrolled: 1-line block ×3, first 2 shown]
                                        ; implicit-def: $vgpr31
                                        ; implicit-def: $vgpr33
	s_and_saveexec_b32 s1, s0
	s_cbranch_execz .LBB0_15
; %bb.14:
	ds_load_b64 v[32:33], v35 offset:4560
	ds_load_b64 v[20:21], v36
	ds_load_b64 v[30:31], v35 offset:6960
.LBB0_15:
	s_or_b32 exec_lo, exec_lo, s1
	v_add_nc_u32_e32 v26, -10, v12
	v_cmp_gt_u32_e64 s1, 10, v12
	v_dual_mov_b32 v41, 0 :: v_dual_lshlrev_b32 v40, 1, v12
	v_lshrrev_b16 v42, 2, v19
	s_delay_alu instid0(VALU_DEP_3) | instskip(NEXT) | instid1(VALU_DEP_3)
	v_cndmask_b32_e64 v57, v26, v17, s1
	v_lshlrev_b64 v[26:27], 3, v[40:41]
	s_delay_alu instid0(VALU_DEP_3) | instskip(NEXT) | instid1(VALU_DEP_3)
	v_and_b32_e32 v47, 0xffff, v42
	v_lshlrev_b32_e32 v40, 1, v57
	s_delay_alu instid0(VALU_DEP_3) | instskip(NEXT) | instid1(VALU_DEP_2)
	v_add_co_u32 v26, s1, s4, v26
	v_lshlrev_b64 v[45:46], 3, v[40:41]
	v_add_co_ci_u32_e64 v27, s1, s5, v27, s1
	v_mul_u32_u24_e32 v49, 0x147b, v47
	v_lshrrev_b16 v40, 2, v16
	s_delay_alu instid0(VALU_DEP_4)
	v_add_co_u32 v45, s1, s4, v45
	global_load_b128 v[41:44], v[26:27], off offset:720
	v_add_co_ci_u32_e64 v46, s1, s5, v46, s1
	v_lshrrev_b32_e32 v58, 17, v49
	v_cmp_lt_u32_e64 s1, 9, v12
	global_load_b128 v[45:48], v[45:46], off offset:720
	v_lshlrev_b32_e32 v57, 3, v57
	v_mul_lo_u16 v49, 0x64, v58
	v_cndmask_b32_e64 v60, 0, 0x960, s1
	v_and_b32_e32 v40, 0xffff, v40
	v_mad_u32_u24 v58, 0x960, v58, 0
	s_delay_alu instid0(VALU_DEP_4) | instskip(NEXT) | instid1(VALU_DEP_4)
	v_sub_nc_u16 v49, v19, v49
	v_add_nc_u32_e32 v60, 0, v60
	s_delay_alu instid0(VALU_DEP_2) | instskip(NEXT) | instid1(VALU_DEP_2)
	v_and_b32_e32 v59, 0xffff, v49
	v_add3_u32 v57, v60, v57, v39
	s_waitcnt vmcnt(1) lgkmcnt(5)
	v_mul_f32_e32 v60, v42, v9
	s_delay_alu instid0(VALU_DEP_3)
	v_dual_mul_f32 v42, v42, v8 :: v_dual_lshlrev_b32 v49, 4, v59
	s_waitcnt lgkmcnt(4)
	v_mul_f32_e32 v61, v44, v3
	v_mul_f32_e32 v44, v44, v2
	v_fmac_f32_e32 v60, v41, v8
	v_fma_f32 v8, v41, v9, -v42
	s_waitcnt vmcnt(0)
	v_mul_f32_e32 v9, v46, v11
	v_mul_u32_u24_e32 v40, 0x147b, v40
	v_fmac_f32_e32 v61, v43, v2
	s_waitcnt lgkmcnt(3)
	v_dual_mul_f32 v42, v48, v4 :: v_dual_lshlrev_b32 v59, 3, v59
	v_fma_f32 v3, v43, v3, -v44
	v_lshrrev_b32_e32 v40, 17, v40
	s_waitcnt lgkmcnt(2)
	v_dual_add_f32 v43, v22, v60 :: v_dual_add_f32 v44, v60, v61
	v_add3_u32 v58, v58, v59, v39
	v_fmac_f32_e32 v9, v45, v10
	v_mul_lo_u16 v40, 0x64, v40
	v_dual_mul_f32 v41, v48, v5 :: v_dual_add_f32 v48, v23, v8
	v_sub_f32_e32 v59, v60, v61
	v_fma_f32 v22, -0.5, v44, v22
	s_delay_alu instid0(VALU_DEP_4) | instskip(SKIP_3) | instid1(VALU_DEP_4)
	v_sub_nc_u16 v40, v16, v40
	v_mul_f32_e32 v2, v46, v10
	v_dual_sub_f32 v46, v8, v3 :: v_dual_fmac_f32 v41, v47, v4
	v_add_f32_e32 v8, v8, v3
	v_dual_add_f32 v3, v48, v3 :: v_dual_and_b32 v40, 0xffff, v40
	s_delay_alu instid0(VALU_DEP_3) | instskip(SKIP_2) | instid1(VALU_DEP_4)
	v_fmamk_f32 v4, v46, 0xbf5db3d7, v22
	v_fma_f32 v10, v45, v11, -v2
	v_fma_f32 v11, v47, v5, -v42
	v_lshlrev_b32_e32 v53, 4, v40
	s_clause 0x1
	global_load_b128 v[49:52], v49, s[4:5] offset:720
	global_load_b128 v[53:56], v53, s[4:5] offset:720
	v_dual_fmac_f32 v23, -0.5, v8 :: v_dual_add_f32 v2, v43, v61
	v_dual_fmac_f32 v22, 0x3f5db3d7, v46 :: v_dual_sub_f32 v43, v10, v11
	s_waitcnt lgkmcnt(1)
	v_add_f32_e32 v44, v29, v10
	v_dual_add_f32 v10, v10, v11 :: v_dual_sub_f32 v45, v9, v41
	v_dual_fmamk_f32 v5, v59, 0x3f5db3d7, v23 :: v_dual_add_f32 v42, v9, v41
	v_dual_fmac_f32 v23, 0xbf5db3d7, v59 :: v_dual_add_f32 v8, v28, v9
	s_waitcnt vmcnt(0) lgkmcnt(0)
	s_barrier
	buffer_gl0_inv
	ds_store_2addr_b64 v35, v[2:3], v[4:5] offset1:100
	ds_store_b64 v35, v[22:23] offset:1600
	v_fmac_f32_e32 v29, -0.5, v10
	v_dual_mul_f32 v47, v50, v0 :: v_dual_mul_f32 v48, v52, v7
	v_dual_mul_f32 v59, v31, v56 :: v_dual_mul_f32 v46, v50, v1
	v_add_f32_e32 v9, v44, v11
	v_mul_f32_e32 v50, v52, v6
	v_mul_f32_e32 v52, v33, v54
	;; [unrolled: 1-line block ×3, first 2 shown]
	v_fma_f32 v2, v49, v1, -v47
	v_dual_fmamk_f32 v1, v45, 0x3f5db3d7, v29 :: v_dual_mul_f32 v56, v30, v56
	v_fmac_f32_e32 v59, v30, v55
	s_delay_alu instid0(VALU_DEP_4) | instskip(NEXT) | instid1(VALU_DEP_4)
	v_fma_f32 v4, v33, v53, -v54
	v_add_f32_e32 v11, v25, v2
	v_fma_f32 v3, v51, v7, -v50
	v_fma_f32 v5, v31, v55, -v56
	v_fmac_f32_e32 v29, 0xbf5db3d7, v45
	v_dual_fmac_f32 v52, v32, v53 :: v_dual_add_f32 v33, v21, v4
	v_fmac_f32_e32 v46, v49, v0
	v_fmac_f32_e32 v48, v51, v6
	v_fma_f32 v28, -0.5, v42, v28
	s_delay_alu instid0(VALU_DEP_4)
	v_add_f32_e32 v23, v20, v52
	v_add_f32_e32 v31, v52, v59
	v_sub_f32_e32 v32, v4, v5
	v_add_f32_e32 v4, v4, v5
	v_add_f32_e32 v22, v2, v3
	v_dual_add_f32 v8, v8, v41 :: v_dual_add_f32 v7, v46, v48
	v_dual_fmamk_f32 v0, v43, 0xbf5db3d7, v28 :: v_dual_sub_f32 v41, v52, v59
	v_add_f32_e32 v6, v24, v46
	v_dual_fmac_f32 v20, -0.5, v31 :: v_dual_fmac_f32 v21, -0.5, v4
	v_dual_fmac_f32 v28, 0x3f5db3d7, v43 :: v_dual_fmac_f32 v25, -0.5, v22
	v_sub_f32_e32 v30, v46, v48
	v_sub_f32_e32 v10, v2, v3
	v_fma_f32 v24, -0.5, v7, v24
	v_dual_add_f32 v3, v11, v3 :: v_dual_add_f32 v2, v6, v48
	v_dual_add_f32 v22, v23, v59 :: v_dual_add_f32 v23, v33, v5
	v_fmamk_f32 v31, v41, 0x3f5db3d7, v21
	v_fmac_f32_e32 v21, 0xbf5db3d7, v41
	v_fmamk_f32 v5, v30, 0x3f5db3d7, v25
	v_dual_fmac_f32 v25, 0xbf5db3d7, v30 :: v_dual_fmamk_f32 v30, v32, 0xbf5db3d7, v20
	v_fmac_f32_e32 v20, 0x3f5db3d7, v32
	v_fmamk_f32 v4, v10, 0xbf5db3d7, v24
	v_fmac_f32_e32 v24, 0x3f5db3d7, v10
	ds_store_2addr_b64 v57, v[8:9], v[0:1] offset1:100
	ds_store_b64 v57, v[28:29] offset:1600
	ds_store_2addr_b64 v58, v[2:3], v[4:5] offset1:100
	ds_store_b64 v58, v[24:25] offset:1600
	s_and_saveexec_b32 s1, s0
	s_cbranch_execz .LBB0_17
; %bb.16:
	v_lshlrev_b32_e32 v0, 3, v40
	s_delay_alu instid0(VALU_DEP_1) | instskip(NEXT) | instid1(VALU_DEP_1)
	v_add3_u32 v0, 0, v0, v39
	v_add_nc_u32_e32 v1, 0x1000, v0
	ds_store_2addr_b64 v1, v[22:23], v[30:31] offset0:88 offset1:188
	ds_store_b64 v0, v[20:21] offset:6400
.LBB0_17:
	s_or_b32 exec_lo, exec_lo, s1
	v_add_nc_u32_e32 v0, 0x800, v35
	v_add_nc_u32_e32 v1, 0xc00, v35
	;; [unrolled: 1-line block ×3, first 2 shown]
	s_waitcnt lgkmcnt(0)
	s_barrier
	buffer_gl0_inv
	ds_load_2addr_b64 v[8:11], v0 offset0:44 offset1:134
	ds_load_2addr_b64 v[4:7], v1 offset0:96 offset1:216
	ds_load_2addr_b64 v[0:3], v2 offset0:50 offset1:140
	ds_load_b64 v[32:33], v34
	ds_load_b64 v[28:29], v38
	;; [unrolled: 1-line block ×3, first 2 shown]
	s_and_saveexec_b32 s1, s0
	s_cbranch_execz .LBB0_19
; %bb.18:
	ds_load_b64 v[30:31], v35 offset:4560
	ds_load_b64 v[22:23], v36
	ds_load_b64 v[20:21], v35 offset:6960
.LBB0_19:
	s_or_b32 exec_lo, exec_lo, s1
	global_load_b128 v[39:42], v[26:27], off offset:2320
	v_dual_mov_b32 v27, 0 :: v_dual_lshlrev_b32 v26, 1, v17
	s_delay_alu instid0(VALU_DEP_1) | instskip(NEXT) | instid1(VALU_DEP_1)
	v_lshlrev_b64 v[43:44], 3, v[26:27]
	v_add_co_u32 v43, s1, s4, v43
	s_delay_alu instid0(VALU_DEP_1) | instskip(SKIP_3) | instid1(VALU_DEP_1)
	v_add_co_ci_u32_e64 v44, s1, s5, v44, s1
	global_load_b128 v[43:46], v[43:44], off offset:2320
	s_waitcnt vmcnt(1) lgkmcnt(4)
	v_mul_f32_e32 v51, v42, v7
	v_dual_fmac_f32 v51, v41, v6 :: v_dual_lshlrev_b32 v26, 1, v19
	s_delay_alu instid0(VALU_DEP_1) | instskip(SKIP_1) | instid1(VALU_DEP_1)
	v_lshlrev_b64 v[47:48], 3, v[26:27]
	v_mul_f32_e32 v26, v40, v9
	v_fmac_f32_e32 v26, v39, v8
	s_delay_alu instid0(VALU_DEP_3) | instskip(NEXT) | instid1(VALU_DEP_1)
	v_add_co_u32 v47, s1, s4, v47
	v_add_co_ci_u32_e64 v48, s1, s5, v48, s1
	v_mul_f32_e32 v40, v40, v8
	global_load_b128 v[47:50], v[47:48], off offset:2320
	s_waitcnt vmcnt(0) lgkmcnt(0)
	v_fma_f32 v8, v39, v9, -v40
	v_add_f32_e32 v9, v26, v51
	v_mul_f32_e32 v42, v42, v6
	s_barrier
	buffer_gl0_inv
	v_add_f32_e32 v40, v33, v8
	v_fma_f32 v7, v41, v7, -v42
	v_dual_mul_f32 v41, v44, v10 :: v_dual_mul_f32 v42, v46, v1
	s_delay_alu instid0(VALU_DEP_2) | instskip(SKIP_4) | instid1(VALU_DEP_4)
	v_sub_f32_e32 v39, v8, v7
	v_add_f32_e32 v8, v8, v7
	v_add_f32_e32 v7, v40, v7
	v_mul_f32_e32 v40, v44, v11
	v_mul_f32_e32 v44, v46, v0
	v_dual_fmac_f32 v33, -0.5, v8 :: v_dual_add_f32 v6, v32, v26
	v_sub_f32_e32 v26, v26, v51
	v_fma_f32 v32, -0.5, v9, v32
	s_delay_alu instid0(VALU_DEP_4) | instskip(NEXT) | instid1(VALU_DEP_2)
	v_fma_f32 v1, v45, v1, -v44
	v_fmamk_f32 v8, v39, 0xbf5db3d7, v32
	v_dual_fmac_f32 v32, 0x3f5db3d7, v39 :: v_dual_mul_f32 v39, v50, v2
	v_fmac_f32_e32 v40, v43, v10
	v_fma_f32 v10, v43, v11, -v41
	v_mul_f32_e32 v11, v48, v5
	v_fmamk_f32 v9, v26, 0x3f5db3d7, v33
	v_dual_fmac_f32 v33, 0xbf5db3d7, v26 :: v_dual_mul_f32 v26, v50, v3
	s_delay_alu instid0(VALU_DEP_3) | instskip(NEXT) | instid1(VALU_DEP_2)
	v_dual_add_f32 v6, v6, v51 :: v_dual_fmac_f32 v11, v47, v4
	v_fmac_f32_e32 v26, v49, v2
	v_fmac_f32_e32 v42, v45, v0
	v_mul_f32_e32 v0, v48, v4
	s_delay_alu instid0(VALU_DEP_1)
	v_fma_f32 v4, v47, v5, -v0
	v_fma_f32 v5, v49, v3, -v39
	v_sub_f32_e32 v3, v10, v1
	ds_store_b64 v35, v[6:7]
	ds_store_b64 v35, v[8:9] offset:2400
	ds_store_b64 v35, v[32:33] offset:4800
	v_dual_add_f32 v6, v29, v10 :: v_dual_add_f32 v7, v10, v1
	v_dual_sub_f32 v9, v4, v5 :: v_dual_add_f32 v10, v25, v4
	s_delay_alu instid0(VALU_DEP_2) | instskip(SKIP_1) | instid1(VALU_DEP_3)
	v_dual_add_f32 v4, v4, v5 :: v_dual_fmac_f32 v29, -0.5, v7
	v_add_f32_e32 v7, v11, v26
	v_add_f32_e32 v5, v10, v5
	s_delay_alu instid0(VALU_DEP_3)
	v_fmac_f32_e32 v25, -0.5, v4
	v_dual_add_f32 v1, v6, v1 :: v_dual_sub_f32 v8, v40, v42
	v_add_f32_e32 v2, v40, v42
	v_add_f32_e32 v0, v28, v40
	;; [unrolled: 1-line block ×3, first 2 shown]
	v_fma_f32 v24, -0.5, v7, v24
	s_delay_alu instid0(VALU_DEP_4) | instskip(NEXT) | instid1(VALU_DEP_1)
	v_fma_f32 v28, -0.5, v2, v28
	v_fmamk_f32 v2, v3, 0xbf5db3d7, v28
	v_dual_fmac_f32 v28, 0x3f5db3d7, v3 :: v_dual_fmamk_f32 v3, v8, 0x3f5db3d7, v29
	v_sub_f32_e32 v11, v11, v26
	v_add_f32_e32 v0, v0, v42
	v_add_f32_e32 v4, v6, v26
	v_fmamk_f32 v6, v9, 0xbf5db3d7, v24
	s_delay_alu instid0(VALU_DEP_4)
	v_dual_fmac_f32 v24, 0x3f5db3d7, v9 :: v_dual_fmamk_f32 v7, v11, 0x3f5db3d7, v25
	v_fmac_f32_e32 v25, 0xbf5db3d7, v11
	v_fmac_f32_e32 v29, 0xbf5db3d7, v8
	ds_store_b64 v38, v[0:1]
	ds_store_b64 v38, v[2:3] offset:2400
	ds_store_b64 v38, v[28:29] offset:4800
	ds_store_b64 v37, v[4:5]
	ds_store_b64 v37, v[6:7] offset:2400
	ds_store_b64 v37, v[24:25] offset:4800
	s_and_saveexec_b32 s1, s0
	s_cbranch_execz .LBB0_21
; %bb.20:
	v_subrev_nc_u32_e32 v0, 30, v12
	s_delay_alu instid0(VALU_DEP_1) | instskip(NEXT) | instid1(VALU_DEP_1)
	v_cndmask_b32_e64 v0, v0, v16, s0
	v_lshlrev_b32_e32 v26, 1, v0
	s_delay_alu instid0(VALU_DEP_1) | instskip(NEXT) | instid1(VALU_DEP_1)
	v_lshlrev_b64 v[0:1], 3, v[26:27]
	v_add_co_u32 v0, s0, s4, v0
	s_delay_alu instid0(VALU_DEP_1) | instskip(SKIP_4) | instid1(VALU_DEP_1)
	v_add_co_ci_u32_e64 v1, s0, s5, v1, s0
	global_load_b128 v[0:3], v[0:1], off offset:2320
	s_waitcnt vmcnt(0)
	v_mul_f32_e32 v5, v20, v3
	v_mul_f32_e32 v6, v21, v3
	v_fmac_f32_e32 v6, v20, v2
	v_mul_f32_e32 v4, v30, v1
	v_mul_f32_e32 v1, v31, v1
	s_delay_alu instid0(VALU_DEP_1) | instskip(NEXT) | instid1(VALU_DEP_1)
	v_fmac_f32_e32 v1, v30, v0
	v_sub_f32_e32 v7, v1, v6
	s_delay_alu instid0(VALU_DEP_4) | instskip(SKIP_1) | instid1(VALU_DEP_2)
	v_fma_f32 v3, v31, v0, -v4
	v_fma_f32 v4, v21, v2, -v5
	v_add_f32_e32 v5, v23, v3
	s_delay_alu instid0(VALU_DEP_2) | instskip(SKIP_1) | instid1(VALU_DEP_3)
	v_add_f32_e32 v0, v3, v4
	v_dual_add_f32 v2, v1, v6 :: v_dual_sub_f32 v9, v3, v4
	v_dual_add_f32 v8, v22, v1 :: v_dual_add_f32 v3, v5, v4
	s_delay_alu instid0(VALU_DEP_3) | instskip(NEXT) | instid1(VALU_DEP_3)
	v_fma_f32 v1, -0.5, v0, v23
	v_fma_f32 v0, -0.5, v2, v22
	s_delay_alu instid0(VALU_DEP_2) | instskip(NEXT) | instid1(VALU_DEP_2)
	v_dual_add_f32 v2, v8, v6 :: v_dual_fmamk_f32 v5, v7, 0xbf5db3d7, v1
	v_dual_fmac_f32 v1, 0x3f5db3d7, v7 :: v_dual_fmamk_f32 v4, v9, 0x3f5db3d7, v0
	v_fmac_f32_e32 v0, 0xbf5db3d7, v9
	ds_store_b64 v35, v[2:3] offset:2160
	ds_store_b64 v35, v[0:1] offset:4560
	;; [unrolled: 1-line block ×3, first 2 shown]
.LBB0_21:
	s_or_b32 exec_lo, exec_lo, s1
	s_waitcnt lgkmcnt(0)
	s_barrier
	buffer_gl0_inv
	ds_load_b64 v[4:5], v34
	v_sub_nc_u32_e32 v6, v13, v18
	s_add_u32 s1, s4, 0x1bd0
	s_addc_u32 s2, s5, 0
	s_mov_b32 s3, exec_lo
                                        ; implicit-def: $vgpr0
                                        ; implicit-def: $vgpr7
                                        ; implicit-def: $vgpr8
                                        ; implicit-def: $vgpr2_vgpr3
	v_cmpx_ne_u32_e32 0, v12
	s_xor_b32 s3, exec_lo, s3
	s_cbranch_execz .LBB0_23
; %bb.22:
	ds_load_b64 v[2:3], v6 offset:7200
	s_waitcnt lgkmcnt(0)
	v_dual_mov_b32 v13, 0 :: v_dual_add_f32 v8, v3, v5
	s_delay_alu instid0(VALU_DEP_1) | instskip(SKIP_2) | instid1(VALU_DEP_2)
	v_lshlrev_b64 v[0:1], 3, v[12:13]
	v_dual_sub_f32 v7, v4, v2 :: v_dual_add_f32 v2, v2, v4
	v_sub_f32_e32 v3, v5, v3
	v_mul_f32_e32 v5, 0.5, v7
	s_delay_alu instid0(VALU_DEP_4) | instskip(NEXT) | instid1(VALU_DEP_1)
	v_add_co_u32 v0, s0, s1, v0
	v_add_co_ci_u32_e64 v1, s0, s2, v1, s0
	s_delay_alu instid0(VALU_DEP_4) | instskip(SKIP_3) | instid1(VALU_DEP_1)
	v_mul_f32_e32 v3, 0.5, v3
	global_load_b64 v[0:1], v[0:1], off
	s_waitcnt vmcnt(0)
	v_dual_mul_f32 v9, 0.5, v8 :: v_dual_mul_f32 v4, v1, v5
	v_fma_f32 v8, v9, v1, v3
	v_fma_f32 v1, v9, v1, -v3
	s_delay_alu instid0(VALU_DEP_3) | instskip(SKIP_1) | instid1(VALU_DEP_4)
	v_fma_f32 v7, 0.5, v2, v4
	v_fma_f32 v2, v2, 0.5, -v4
	v_fma_f32 v8, -v0, v5, v8
	s_delay_alu instid0(VALU_DEP_4) | instskip(NEXT) | instid1(VALU_DEP_4)
	v_fma_f32 v1, -v0, v5, v1
                                        ; implicit-def: $vgpr4_vgpr5
	v_fmac_f32_e32 v7, v0, v9
	s_delay_alu instid0(VALU_DEP_4)
	v_fma_f32 v0, -v0, v9, v2
	v_dual_mov_b32 v2, v12 :: v_dual_mov_b32 v3, v13
                                        ; implicit-def: $vgpr13
.LBB0_23:
	s_and_not1_saveexec_b32 s0, s3
	s_cbranch_execz .LBB0_25
; %bb.24:
	ds_load_b32 v1, v13 offset:3604
	s_waitcnt lgkmcnt(1)
	v_dual_add_f32 v7, v4, v5 :: v_dual_mov_b32 v2, 0
	v_dual_sub_f32 v0, v4, v5 :: v_dual_mov_b32 v3, 0
	v_mov_b32_e32 v8, 0
	s_waitcnt lgkmcnt(0)
	v_xor_b32_e32 v4, 0x80000000, v1
	v_mov_b32_e32 v1, 0
	ds_store_b32 v13, v4 offset:3604
.LBB0_25:
	s_or_b32 exec_lo, exec_lo, s0
	v_mov_b32_e32 v18, 0
	v_lshlrev_b64 v[2:3], 3, v[2:3]
	s_waitcnt lgkmcnt(0)
	s_delay_alu instid0(VALU_DEP_2) | instskip(SKIP_2) | instid1(VALU_DEP_2)
	v_lshlrev_b64 v[4:5], 3, v[17:18]
	v_mov_b32_e32 v20, v18
	v_mov_b32_e32 v17, v18
	v_lshlrev_b64 v[9:10], 3, v[19:20]
	s_delay_alu instid0(VALU_DEP_4) | instskip(NEXT) | instid1(VALU_DEP_1)
	v_add_co_u32 v4, s0, s1, v4
	v_add_co_ci_u32_e64 v5, s0, s2, v5, s0
	s_delay_alu instid0(VALU_DEP_4) | instskip(NEXT) | instid1(VALU_DEP_4)
	v_lshlrev_b64 v[16:17], 3, v[16:17]
	v_add_co_u32 v9, s0, s1, v9
	global_load_b64 v[4:5], v[4:5], off
	v_add_co_ci_u32_e64 v10, s0, s2, v10, s0
	v_add_co_u32 v16, s0, s1, v16
	s_delay_alu instid0(VALU_DEP_1)
	v_add_co_ci_u32_e64 v17, s0, s2, v17, s0
	global_load_b64 v[9:10], v[9:10], off
	v_add_co_u32 v18, s0, s1, v2
	global_load_b64 v[16:17], v[16:17], off
	v_add_co_ci_u32_e64 v19, s0, s2, v3, s0
	global_load_b64 v[18:19], v[18:19], off offset:2880
	ds_store_2addr_b32 v34, v7, v8 offset1:1
	ds_store_b64 v6, v[0:1] offset:7200
	ds_load_b64 v[0:1], v38
	ds_load_b64 v[7:8], v6 offset:6480
	s_waitcnt lgkmcnt(0)
	v_sub_f32_e32 v11, v0, v7
	v_add_f32_e32 v13, v1, v8
	v_dual_sub_f32 v1, v1, v8 :: v_dual_add_f32 v0, v0, v7
	s_delay_alu instid0(VALU_DEP_2) | instskip(NEXT) | instid1(VALU_DEP_2)
	v_dual_mul_f32 v8, 0.5, v11 :: v_dual_mul_f32 v11, 0.5, v13
	v_mul_f32_e32 v1, 0.5, v1
	s_waitcnt vmcnt(3)
	s_delay_alu instid0(VALU_DEP_2) | instskip(NEXT) | instid1(VALU_DEP_2)
	v_mul_f32_e32 v7, v5, v8
	v_fma_f32 v13, v11, v5, v1
	v_fma_f32 v1, v11, v5, -v1
	s_delay_alu instid0(VALU_DEP_3) | instskip(SKIP_1) | instid1(VALU_DEP_4)
	v_fma_f32 v5, 0.5, v0, v7
	v_fma_f32 v0, v0, 0.5, -v7
	v_fma_f32 v7, -v4, v8, v13
	s_delay_alu instid0(VALU_DEP_4) | instskip(NEXT) | instid1(VALU_DEP_4)
	v_fma_f32 v1, -v4, v8, v1
	v_fmac_f32_e32 v5, v4, v11
	s_delay_alu instid0(VALU_DEP_4)
	v_fma_f32 v0, -v4, v11, v0
	ds_store_2addr_b32 v38, v5, v7 offset1:1
	ds_store_b64 v6, v[0:1] offset:6480
	ds_load_b64 v[0:1], v37
	ds_load_b64 v[4:5], v6 offset:5760
	s_waitcnt lgkmcnt(0)
	v_dual_sub_f32 v7, v0, v4 :: v_dual_add_f32 v8, v1, v5
	v_dual_sub_f32 v1, v1, v5 :: v_dual_add_f32 v0, v0, v4
	s_delay_alu instid0(VALU_DEP_2) | instskip(NEXT) | instid1(VALU_DEP_3)
	v_mul_f32_e32 v5, 0.5, v7
	v_mul_f32_e32 v7, 0.5, v8
	s_delay_alu instid0(VALU_DEP_3) | instskip(SKIP_1) | instid1(VALU_DEP_3)
	v_mul_f32_e32 v1, 0.5, v1
	s_waitcnt vmcnt(2)
	v_mul_f32_e32 v4, v10, v5
	s_delay_alu instid0(VALU_DEP_2) | instskip(SKIP_1) | instid1(VALU_DEP_3)
	v_fma_f32 v8, v7, v10, v1
	v_fma_f32 v1, v7, v10, -v1
	v_fma_f32 v10, 0.5, v0, v4
	v_fma_f32 v0, v0, 0.5, -v4
	s_delay_alu instid0(VALU_DEP_4) | instskip(NEXT) | instid1(VALU_DEP_4)
	v_fma_f32 v4, -v9, v5, v8
	v_fma_f32 v1, -v9, v5, v1
	s_delay_alu instid0(VALU_DEP_4) | instskip(NEXT) | instid1(VALU_DEP_4)
	v_fmac_f32_e32 v10, v9, v7
	v_fma_f32 v0, -v9, v7, v0
	ds_store_2addr_b32 v37, v10, v4 offset1:1
	ds_store_b64 v6, v[0:1] offset:5760
	ds_load_b64 v[0:1], v36
	ds_load_b64 v[4:5], v6 offset:5040
	s_waitcnt lgkmcnt(0)
	v_dual_add_f32 v8, v1, v5 :: v_dual_sub_f32 v7, v0, v4
	v_dual_sub_f32 v1, v1, v5 :: v_dual_add_f32 v0, v0, v4
	s_delay_alu instid0(VALU_DEP_2) | instskip(NEXT) | instid1(VALU_DEP_3)
	v_mul_f32_e32 v5, 0.5, v7
	v_mul_f32_e32 v7, 0.5, v8
	s_delay_alu instid0(VALU_DEP_3) | instskip(SKIP_1) | instid1(VALU_DEP_3)
	v_mul_f32_e32 v1, 0.5, v1
	s_waitcnt vmcnt(1)
	v_mul_f32_e32 v4, v17, v5
	s_delay_alu instid0(VALU_DEP_2) | instskip(SKIP_1) | instid1(VALU_DEP_3)
	v_fma_f32 v8, v7, v17, v1
	v_fma_f32 v1, v7, v17, -v1
	v_fma_f32 v9, 0.5, v0, v4
	v_fma_f32 v0, v0, 0.5, -v4
	s_delay_alu instid0(VALU_DEP_4) | instskip(NEXT) | instid1(VALU_DEP_4)
	v_fma_f32 v4, -v16, v5, v8
	v_fma_f32 v1, -v16, v5, v1
	s_delay_alu instid0(VALU_DEP_4) | instskip(NEXT) | instid1(VALU_DEP_4)
	v_fmac_f32_e32 v9, v16, v7
	v_fma_f32 v0, -v16, v7, v0
	ds_store_2addr_b32 v36, v9, v4 offset1:1
	ds_store_b64 v6, v[0:1] offset:5040
	ds_load_b64 v[0:1], v34 offset:2880
	ds_load_b64 v[4:5], v6 offset:4320
	s_waitcnt lgkmcnt(0)
	v_dual_sub_f32 v7, v0, v4 :: v_dual_add_f32 v8, v1, v5
	v_dual_sub_f32 v1, v1, v5 :: v_dual_add_f32 v0, v0, v4
	s_delay_alu instid0(VALU_DEP_2) | instskip(NEXT) | instid1(VALU_DEP_3)
	v_mul_f32_e32 v5, 0.5, v7
	v_mul_f32_e32 v7, 0.5, v8
	s_delay_alu instid0(VALU_DEP_3) | instskip(SKIP_1) | instid1(VALU_DEP_3)
	v_mul_f32_e32 v1, 0.5, v1
	s_waitcnt vmcnt(0)
	v_mul_f32_e32 v4, v19, v5
	s_delay_alu instid0(VALU_DEP_2) | instskip(SKIP_1) | instid1(VALU_DEP_3)
	v_fma_f32 v8, v7, v19, v1
	v_fma_f32 v1, v7, v19, -v1
	v_fma_f32 v9, 0.5, v0, v4
	v_fma_f32 v4, v0, 0.5, -v4
	v_add_nc_u32_e32 v0, 0x800, v34
	v_fma_f32 v8, -v18, v5, v8
	v_fma_f32 v5, -v18, v5, v1
	v_fmac_f32_e32 v9, v18, v7
	v_fma_f32 v4, -v18, v7, v4
	ds_store_2addr_b32 v0, v9, v8 offset0:208 offset1:209
	ds_store_b64 v6, v[4:5] offset:4320
	s_waitcnt lgkmcnt(0)
	s_barrier
	buffer_gl0_inv
	s_and_saveexec_b32 s0, vcc_lo
	s_cbranch_execz .LBB0_28
; %bb.26:
	v_add_nc_u32_e32 v1, 0x400, v34
	v_add_nc_u32_e32 v13, 0x1000, v34
	;; [unrolled: 1-line block ×3, first 2 shown]
	ds_load_2addr_b64 v[4:7], v34 offset1:90
	ds_load_2addr_b64 v[8:11], v1 offset0:52 offset1:142
	ds_load_2addr_b64 v[16:19], v0 offset0:104 offset1:194
	;; [unrolled: 1-line block ×4, first 2 shown]
	v_add_co_u32 v0, vcc_lo, s8, v14
	v_add_co_ci_u32_e32 v1, vcc_lo, s9, v15, vcc_lo
	s_delay_alu instid0(VALU_DEP_2) | instskip(NEXT) | instid1(VALU_DEP_2)
	v_add_co_u32 v2, vcc_lo, v0, v2
	v_add_co_ci_u32_e32 v3, vcc_lo, v1, v3, vcc_lo
	v_cmp_eq_u32_e32 vcc_lo, 0x59, v12
	s_delay_alu instid0(VALU_DEP_3) | instskip(NEXT) | instid1(VALU_DEP_1)
	v_add_co_u32 v12, s0, 0x1000, v2
	v_add_co_ci_u32_e64 v13, s0, 0, v3, s0
	s_waitcnt lgkmcnt(4)
	s_clause 0x1
	global_store_b64 v[2:3], v[4:5], off
	global_store_b64 v[2:3], v[6:7], off offset:720
	s_waitcnt lgkmcnt(3)
	s_clause 0x1
	global_store_b64 v[2:3], v[8:9], off offset:1440
	global_store_b64 v[2:3], v[10:11], off offset:2160
	s_waitcnt lgkmcnt(2)
	s_clause 0x1
	global_store_b64 v[2:3], v[16:17], off offset:2880
	global_store_b64 v[2:3], v[18:19], off offset:3600
	s_waitcnt lgkmcnt(1)
	s_clause 0x1
	global_store_b64 v[12:13], v[20:21], off offset:224
	global_store_b64 v[12:13], v[22:23], off offset:944
	s_waitcnt lgkmcnt(0)
	s_clause 0x1
	global_store_b64 v[12:13], v[24:25], off offset:1664
	global_store_b64 v[12:13], v[26:27], off offset:2384
	s_and_b32 exec_lo, exec_lo, vcc_lo
	s_cbranch_execz .LBB0_28
; %bb.27:
	ds_load_b64 v[2:3], v34 offset:6488
	v_add_co_u32 v0, vcc_lo, 0x1000, v0
	v_add_co_ci_u32_e32 v1, vcc_lo, 0, v1, vcc_lo
	s_waitcnt lgkmcnt(0)
	global_store_b64 v[0:1], v[2:3], off offset:3104
.LBB0_28:
	s_nop 0
	s_sendmsg sendmsg(MSG_DEALLOC_VGPRS)
	s_endpgm
	.section	.rodata,"a",@progbits
	.p2align	6, 0x0
	.amdhsa_kernel fft_rtc_back_len900_factors_10_10_3_3_wgs_180_tpt_90_halfLds_sp_ip_CI_unitstride_sbrr_R2C_dirReg
		.amdhsa_group_segment_fixed_size 0
		.amdhsa_private_segment_fixed_size 0
		.amdhsa_kernarg_size 88
		.amdhsa_user_sgpr_count 15
		.amdhsa_user_sgpr_dispatch_ptr 0
		.amdhsa_user_sgpr_queue_ptr 0
		.amdhsa_user_sgpr_kernarg_segment_ptr 1
		.amdhsa_user_sgpr_dispatch_id 0
		.amdhsa_user_sgpr_private_segment_size 0
		.amdhsa_wavefront_size32 1
		.amdhsa_uses_dynamic_stack 0
		.amdhsa_enable_private_segment 0
		.amdhsa_system_sgpr_workgroup_id_x 1
		.amdhsa_system_sgpr_workgroup_id_y 0
		.amdhsa_system_sgpr_workgroup_id_z 0
		.amdhsa_system_sgpr_workgroup_info 0
		.amdhsa_system_vgpr_workitem_id 0
		.amdhsa_next_free_vgpr 70
		.amdhsa_next_free_sgpr 21
		.amdhsa_reserve_vcc 1
		.amdhsa_float_round_mode_32 0
		.amdhsa_float_round_mode_16_64 0
		.amdhsa_float_denorm_mode_32 3
		.amdhsa_float_denorm_mode_16_64 3
		.amdhsa_dx10_clamp 1
		.amdhsa_ieee_mode 1
		.amdhsa_fp16_overflow 0
		.amdhsa_workgroup_processor_mode 1
		.amdhsa_memory_ordered 1
		.amdhsa_forward_progress 0
		.amdhsa_shared_vgpr_count 0
		.amdhsa_exception_fp_ieee_invalid_op 0
		.amdhsa_exception_fp_denorm_src 0
		.amdhsa_exception_fp_ieee_div_zero 0
		.amdhsa_exception_fp_ieee_overflow 0
		.amdhsa_exception_fp_ieee_underflow 0
		.amdhsa_exception_fp_ieee_inexact 0
		.amdhsa_exception_int_div_zero 0
	.end_amdhsa_kernel
	.text
.Lfunc_end0:
	.size	fft_rtc_back_len900_factors_10_10_3_3_wgs_180_tpt_90_halfLds_sp_ip_CI_unitstride_sbrr_R2C_dirReg, .Lfunc_end0-fft_rtc_back_len900_factors_10_10_3_3_wgs_180_tpt_90_halfLds_sp_ip_CI_unitstride_sbrr_R2C_dirReg
                                        ; -- End function
	.section	.AMDGPU.csdata,"",@progbits
; Kernel info:
; codeLenInByte = 7516
; NumSgprs: 23
; NumVgprs: 70
; ScratchSize: 0
; MemoryBound: 0
; FloatMode: 240
; IeeeMode: 1
; LDSByteSize: 0 bytes/workgroup (compile time only)
; SGPRBlocks: 2
; VGPRBlocks: 8
; NumSGPRsForWavesPerEU: 23
; NumVGPRsForWavesPerEU: 70
; Occupancy: 15
; WaveLimiterHint : 1
; COMPUTE_PGM_RSRC2:SCRATCH_EN: 0
; COMPUTE_PGM_RSRC2:USER_SGPR: 15
; COMPUTE_PGM_RSRC2:TRAP_HANDLER: 0
; COMPUTE_PGM_RSRC2:TGID_X_EN: 1
; COMPUTE_PGM_RSRC2:TGID_Y_EN: 0
; COMPUTE_PGM_RSRC2:TGID_Z_EN: 0
; COMPUTE_PGM_RSRC2:TIDIG_COMP_CNT: 0
	.text
	.p2alignl 7, 3214868480
	.fill 96, 4, 3214868480
	.type	__hip_cuid_59b08be741dcb035,@object ; @__hip_cuid_59b08be741dcb035
	.section	.bss,"aw",@nobits
	.globl	__hip_cuid_59b08be741dcb035
__hip_cuid_59b08be741dcb035:
	.byte	0                               ; 0x0
	.size	__hip_cuid_59b08be741dcb035, 1

	.ident	"AMD clang version 19.0.0git (https://github.com/RadeonOpenCompute/llvm-project roc-6.4.0 25133 c7fe45cf4b819c5991fe208aaa96edf142730f1d)"
	.section	".note.GNU-stack","",@progbits
	.addrsig
	.addrsig_sym __hip_cuid_59b08be741dcb035
	.amdgpu_metadata
---
amdhsa.kernels:
  - .args:
      - .actual_access:  read_only
        .address_space:  global
        .offset:         0
        .size:           8
        .value_kind:     global_buffer
      - .offset:         8
        .size:           8
        .value_kind:     by_value
      - .actual_access:  read_only
        .address_space:  global
        .offset:         16
        .size:           8
        .value_kind:     global_buffer
      - .actual_access:  read_only
        .address_space:  global
        .offset:         24
        .size:           8
        .value_kind:     global_buffer
      - .offset:         32
        .size:           8
        .value_kind:     by_value
      - .actual_access:  read_only
        .address_space:  global
        .offset:         40
        .size:           8
        .value_kind:     global_buffer
      - .actual_access:  read_only
        .address_space:  global
        .offset:         48
        .size:           8
        .value_kind:     global_buffer
      - .offset:         56
        .size:           4
        .value_kind:     by_value
      - .actual_access:  read_only
        .address_space:  global
        .offset:         64
        .size:           8
        .value_kind:     global_buffer
      - .actual_access:  read_only
        .address_space:  global
        .offset:         72
        .size:           8
        .value_kind:     global_buffer
      - .address_space:  global
        .offset:         80
        .size:           8
        .value_kind:     global_buffer
    .group_segment_fixed_size: 0
    .kernarg_segment_align: 8
    .kernarg_segment_size: 88
    .language:       OpenCL C
    .language_version:
      - 2
      - 0
    .max_flat_workgroup_size: 180
    .name:           fft_rtc_back_len900_factors_10_10_3_3_wgs_180_tpt_90_halfLds_sp_ip_CI_unitstride_sbrr_R2C_dirReg
    .private_segment_fixed_size: 0
    .sgpr_count:     23
    .sgpr_spill_count: 0
    .symbol:         fft_rtc_back_len900_factors_10_10_3_3_wgs_180_tpt_90_halfLds_sp_ip_CI_unitstride_sbrr_R2C_dirReg.kd
    .uniform_work_group_size: 1
    .uses_dynamic_stack: false
    .vgpr_count:     70
    .vgpr_spill_count: 0
    .wavefront_size: 32
    .workgroup_processor_mode: 1
amdhsa.target:   amdgcn-amd-amdhsa--gfx1100
amdhsa.version:
  - 1
  - 2
...

	.end_amdgpu_metadata
